;; amdgpu-corpus repo=ROCm/rocFFT kind=compiled arch=gfx906 opt=O3
	.text
	.amdgcn_target "amdgcn-amd-amdhsa--gfx906"
	.amdhsa_code_object_version 6
	.protected	fft_rtc_back_len1320_factors_11_2_3_5_4_wgs_165_tpt_165_half_op_CI_CI_unitstride_sbrr_dirReg ; -- Begin function fft_rtc_back_len1320_factors_11_2_3_5_4_wgs_165_tpt_165_half_op_CI_CI_unitstride_sbrr_dirReg
	.globl	fft_rtc_back_len1320_factors_11_2_3_5_4_wgs_165_tpt_165_half_op_CI_CI_unitstride_sbrr_dirReg
	.p2align	8
	.type	fft_rtc_back_len1320_factors_11_2_3_5_4_wgs_165_tpt_165_half_op_CI_CI_unitstride_sbrr_dirReg,@function
fft_rtc_back_len1320_factors_11_2_3_5_4_wgs_165_tpt_165_half_op_CI_CI_unitstride_sbrr_dirReg: ; @fft_rtc_back_len1320_factors_11_2_3_5_4_wgs_165_tpt_165_half_op_CI_CI_unitstride_sbrr_dirReg
; %bb.0:
	s_load_dwordx4 s[8:11], s[4:5], 0x58
	s_load_dwordx4 s[12:15], s[4:5], 0x0
	;; [unrolled: 1-line block ×3, first 2 shown]
	v_mul_u32_u24_e32 v1, 0x18e, v0
	v_mov_b32_e32 v3, 0
	v_mov_b32_e32 v7, 0
	s_waitcnt lgkmcnt(0)
	v_cmp_lt_u64_e64 s[0:1], s[14:15], 2
	v_add_u32_sdwa v9, s6, v1 dst_sel:DWORD dst_unused:UNUSED_PAD src0_sel:DWORD src1_sel:WORD_1
	v_mov_b32_e32 v10, v3
	s_and_b64 vcc, exec, s[0:1]
	v_mov_b32_e32 v8, 0
	s_cbranch_vccnz .LBB0_8
; %bb.1:
	s_load_dwordx2 s[0:1], s[4:5], 0x10
	s_add_u32 s2, s18, 8
	s_addc_u32 s3, s19, 0
	s_add_u32 s6, s16, 8
	s_addc_u32 s7, s17, 0
	v_mov_b32_e32 v7, 0
	s_waitcnt lgkmcnt(0)
	s_add_u32 s20, s0, 8
	v_mov_b32_e32 v8, 0
	v_mov_b32_e32 v1, v7
	s_addc_u32 s21, s1, 0
	s_mov_b64 s[22:23], 1
	v_mov_b32_e32 v2, v8
.LBB0_2:                                ; =>This Inner Loop Header: Depth=1
	s_load_dwordx2 s[24:25], s[20:21], 0x0
                                        ; implicit-def: $vgpr5_vgpr6
	s_waitcnt lgkmcnt(0)
	v_or_b32_e32 v4, s25, v10
	v_cmp_ne_u64_e32 vcc, 0, v[3:4]
	s_and_saveexec_b64 s[0:1], vcc
	s_xor_b64 s[26:27], exec, s[0:1]
	s_cbranch_execz .LBB0_4
; %bb.3:                                ;   in Loop: Header=BB0_2 Depth=1
	v_cvt_f32_u32_e32 v4, s24
	v_cvt_f32_u32_e32 v5, s25
	s_sub_u32 s0, 0, s24
	s_subb_u32 s1, 0, s25
	v_mac_f32_e32 v4, 0x4f800000, v5
	v_rcp_f32_e32 v4, v4
	v_mul_f32_e32 v4, 0x5f7ffffc, v4
	v_mul_f32_e32 v5, 0x2f800000, v4
	v_trunc_f32_e32 v5, v5
	v_mac_f32_e32 v4, 0xcf800000, v5
	v_cvt_u32_f32_e32 v5, v5
	v_cvt_u32_f32_e32 v4, v4
	v_mul_lo_u32 v6, s0, v5
	v_mul_hi_u32 v11, s0, v4
	v_mul_lo_u32 v13, s1, v4
	v_mul_lo_u32 v12, s0, v4
	v_add_u32_e32 v6, v11, v6
	v_add_u32_e32 v6, v6, v13
	v_mul_hi_u32 v11, v4, v12
	v_mul_lo_u32 v13, v4, v6
	v_mul_hi_u32 v15, v4, v6
	v_mul_hi_u32 v14, v5, v12
	v_mul_lo_u32 v12, v5, v12
	v_mul_hi_u32 v16, v5, v6
	v_add_co_u32_e32 v11, vcc, v11, v13
	v_addc_co_u32_e32 v13, vcc, 0, v15, vcc
	v_mul_lo_u32 v6, v5, v6
	v_add_co_u32_e32 v11, vcc, v11, v12
	v_addc_co_u32_e32 v11, vcc, v13, v14, vcc
	v_addc_co_u32_e32 v12, vcc, 0, v16, vcc
	v_add_co_u32_e32 v6, vcc, v11, v6
	v_addc_co_u32_e32 v11, vcc, 0, v12, vcc
	v_add_co_u32_e32 v4, vcc, v4, v6
	v_addc_co_u32_e32 v5, vcc, v5, v11, vcc
	v_mul_lo_u32 v6, s0, v5
	v_mul_hi_u32 v11, s0, v4
	v_mul_lo_u32 v12, s1, v4
	v_mul_lo_u32 v13, s0, v4
	v_add_u32_e32 v6, v11, v6
	v_add_u32_e32 v6, v6, v12
	v_mul_lo_u32 v14, v4, v6
	v_mul_hi_u32 v15, v4, v13
	v_mul_hi_u32 v16, v4, v6
	v_mul_hi_u32 v12, v5, v13
	v_mul_lo_u32 v13, v5, v13
	v_mul_hi_u32 v11, v5, v6
	v_add_co_u32_e32 v14, vcc, v15, v14
	v_addc_co_u32_e32 v15, vcc, 0, v16, vcc
	v_mul_lo_u32 v6, v5, v6
	v_add_co_u32_e32 v13, vcc, v14, v13
	v_addc_co_u32_e32 v12, vcc, v15, v12, vcc
	v_addc_co_u32_e32 v11, vcc, 0, v11, vcc
	v_add_co_u32_e32 v6, vcc, v12, v6
	v_addc_co_u32_e32 v11, vcc, 0, v11, vcc
	v_add_co_u32_e32 v6, vcc, v4, v6
	v_addc_co_u32_e32 v11, vcc, v5, v11, vcc
	v_mad_u64_u32 v[4:5], s[0:1], v9, v11, 0
	v_mul_hi_u32 v12, v9, v6
	v_add_co_u32_e32 v13, vcc, v12, v4
	v_addc_co_u32_e32 v14, vcc, 0, v5, vcc
	v_mad_u64_u32 v[4:5], s[0:1], v10, v6, 0
	v_mad_u64_u32 v[11:12], s[0:1], v10, v11, 0
	v_add_co_u32_e32 v4, vcc, v13, v4
	v_addc_co_u32_e32 v4, vcc, v14, v5, vcc
	v_addc_co_u32_e32 v5, vcc, 0, v12, vcc
	v_add_co_u32_e32 v11, vcc, v4, v11
	v_addc_co_u32_e32 v6, vcc, 0, v5, vcc
	v_mul_lo_u32 v12, s25, v11
	v_mul_lo_u32 v13, s24, v6
	v_mad_u64_u32 v[4:5], s[0:1], s24, v11, 0
	v_add3_u32 v5, v5, v13, v12
	v_sub_u32_e32 v12, v10, v5
	v_mov_b32_e32 v13, s25
	v_sub_co_u32_e32 v4, vcc, v9, v4
	v_subb_co_u32_e64 v12, s[0:1], v12, v13, vcc
	v_subrev_co_u32_e64 v13, s[0:1], s24, v4
	v_subbrev_co_u32_e64 v12, s[0:1], 0, v12, s[0:1]
	v_cmp_le_u32_e64 s[0:1], s25, v12
	v_cndmask_b32_e64 v14, 0, -1, s[0:1]
	v_cmp_le_u32_e64 s[0:1], s24, v13
	v_cndmask_b32_e64 v13, 0, -1, s[0:1]
	v_cmp_eq_u32_e64 s[0:1], s25, v12
	v_cndmask_b32_e64 v12, v14, v13, s[0:1]
	v_add_co_u32_e64 v13, s[0:1], 2, v11
	v_addc_co_u32_e64 v14, s[0:1], 0, v6, s[0:1]
	v_add_co_u32_e64 v15, s[0:1], 1, v11
	v_addc_co_u32_e64 v16, s[0:1], 0, v6, s[0:1]
	v_subb_co_u32_e32 v5, vcc, v10, v5, vcc
	v_cmp_ne_u32_e64 s[0:1], 0, v12
	v_cmp_le_u32_e32 vcc, s25, v5
	v_cndmask_b32_e64 v12, v16, v14, s[0:1]
	v_cndmask_b32_e64 v14, 0, -1, vcc
	v_cmp_le_u32_e32 vcc, s24, v4
	v_cndmask_b32_e64 v4, 0, -1, vcc
	v_cmp_eq_u32_e32 vcc, s25, v5
	v_cndmask_b32_e32 v4, v14, v4, vcc
	v_cmp_ne_u32_e32 vcc, 0, v4
	v_cndmask_b32_e64 v4, v15, v13, s[0:1]
	v_cndmask_b32_e32 v6, v6, v12, vcc
	v_cndmask_b32_e32 v5, v11, v4, vcc
.LBB0_4:                                ;   in Loop: Header=BB0_2 Depth=1
	s_andn2_saveexec_b64 s[0:1], s[26:27]
	s_cbranch_execz .LBB0_6
; %bb.5:                                ;   in Loop: Header=BB0_2 Depth=1
	v_cvt_f32_u32_e32 v4, s24
	s_sub_i32 s26, 0, s24
	v_rcp_iflag_f32_e32 v4, v4
	v_mul_f32_e32 v4, 0x4f7ffffe, v4
	v_cvt_u32_f32_e32 v4, v4
	v_mul_lo_u32 v5, s26, v4
	v_mul_hi_u32 v5, v4, v5
	v_add_u32_e32 v4, v4, v5
	v_mul_hi_u32 v4, v9, v4
	v_mul_lo_u32 v5, v4, s24
	v_add_u32_e32 v6, 1, v4
	v_sub_u32_e32 v5, v9, v5
	v_subrev_u32_e32 v11, s24, v5
	v_cmp_le_u32_e32 vcc, s24, v5
	v_cndmask_b32_e32 v5, v5, v11, vcc
	v_cndmask_b32_e32 v4, v4, v6, vcc
	v_add_u32_e32 v6, 1, v4
	v_cmp_le_u32_e32 vcc, s24, v5
	v_cndmask_b32_e32 v5, v4, v6, vcc
	v_mov_b32_e32 v6, v3
.LBB0_6:                                ;   in Loop: Header=BB0_2 Depth=1
	s_or_b64 exec, exec, s[0:1]
	v_mul_lo_u32 v4, v6, s24
	v_mul_lo_u32 v13, v5, s25
	v_mad_u64_u32 v[11:12], s[0:1], v5, s24, 0
	s_load_dwordx2 s[0:1], s[6:7], 0x0
	s_load_dwordx2 s[24:25], s[2:3], 0x0
	v_add3_u32 v4, v12, v13, v4
	v_sub_co_u32_e32 v9, vcc, v9, v11
	v_subb_co_u32_e32 v4, vcc, v10, v4, vcc
	s_waitcnt lgkmcnt(0)
	v_mul_lo_u32 v10, s0, v4
	v_mul_lo_u32 v11, s1, v9
	v_mad_u64_u32 v[7:8], s[0:1], s0, v9, v[7:8]
	s_add_u32 s22, s22, 1
	s_addc_u32 s23, s23, 0
	s_add_u32 s2, s2, 8
	v_mul_lo_u32 v4, s24, v4
	v_mul_lo_u32 v12, s25, v9
	v_mad_u64_u32 v[1:2], s[0:1], s24, v9, v[1:2]
	v_add3_u32 v8, v11, v8, v10
	s_addc_u32 s3, s3, 0
	v_mov_b32_e32 v9, s14
	s_add_u32 s6, s6, 8
	v_mov_b32_e32 v10, s15
	s_addc_u32 s7, s7, 0
	v_cmp_ge_u64_e32 vcc, s[22:23], v[9:10]
	s_add_u32 s20, s20, 8
	v_add3_u32 v2, v12, v2, v4
	s_addc_u32 s21, s21, 0
	s_cbranch_vccnz .LBB0_9
; %bb.7:                                ;   in Loop: Header=BB0_2 Depth=1
	v_mov_b32_e32 v10, v6
	v_mov_b32_e32 v9, v5
	s_branch .LBB0_2
.LBB0_8:
	v_mov_b32_e32 v1, v7
	v_mov_b32_e32 v5, v9
	;; [unrolled: 1-line block ×4, first 2 shown]
.LBB0_9:
	s_mov_b32 s2, 0x18d3019
	s_load_dwordx2 s[0:1], s[4:5], 0x28
	v_mul_hi_u32 v3, v0, s2
	s_lshl_b64 s[14:15], s[14:15], 3
	s_movk_i32 s2, 0x78
	s_add_u32 s4, s18, s14
	v_mul_u32_u24_e32 v3, 0xa5, v3
	s_waitcnt lgkmcnt(0)
	v_cmp_gt_u64_e64 s[0:1], s[0:1], v[5:6]
	v_sub_u32_e32 v3, v0, v3
	v_cmp_gt_u32_e64 s[2:3], s2, v3
	s_addc_u32 s5, s19, s15
	s_and_b64 s[18:19], s[0:1], s[2:3]
	v_mov_b32_e32 v9, 0
                                        ; implicit-def: $vgpr10
                                        ; implicit-def: $vgpr11
                                        ; implicit-def: $vgpr12
                                        ; implicit-def: $vgpr13
                                        ; implicit-def: $vgpr14
                                        ; implicit-def: $vgpr19
                                        ; implicit-def: $vgpr17
                                        ; implicit-def: $vgpr20
                                        ; implicit-def: $vgpr18
                                        ; implicit-def: $vgpr21
	s_and_saveexec_b64 s[6:7], s[18:19]
	s_cbranch_execz .LBB0_11
; %bb.10:
	s_add_u32 s14, s16, s14
	s_addc_u32 s15, s17, s15
	s_load_dwordx2 s[14:15], s[14:15], 0x0
	v_mov_b32_e32 v12, s9
	v_lshlrev_b64 v[7:8], 2, v[7:8]
	v_mov_b32_e32 v4, 0
	s_waitcnt lgkmcnt(0)
	v_mul_lo_u32 v0, s15, v5
	v_mul_lo_u32 v11, s14, v6
	v_mad_u64_u32 v[9:10], s[14:15], s14, v5, 0
	v_add3_u32 v10, v10, v11, v0
	v_lshlrev_b64 v[9:10], 2, v[9:10]
	v_add_co_u32_e32 v0, vcc, s8, v9
	v_addc_co_u32_e32 v9, vcc, v12, v10, vcc
	v_add_co_u32_e32 v0, vcc, v0, v7
	v_addc_co_u32_e32 v9, vcc, v9, v8, vcc
	v_lshlrev_b64 v[7:8], 2, v[3:4]
	v_add_co_u32_e32 v7, vcc, v0, v7
	v_addc_co_u32_e32 v8, vcc, v9, v8, vcc
	global_load_dword v9, v[7:8], off
	global_load_dword v14, v[7:8], off offset:480
	global_load_dword v17, v[7:8], off offset:960
	;; [unrolled: 1-line block ×7, first 2 shown]
	v_add_co_u32_e32 v15, vcc, 0x1000, v7
	v_addc_co_u32_e32 v16, vcc, 0, v8, vcc
	global_load_dword v21, v[7:8], off offset:3840
	global_load_dword v20, v[15:16], off offset:224
	global_load_dword v19, v[15:16], off offset:704
.LBB0_11:
	s_or_b64 exec, exec, s[6:7]
	s_waitcnt vmcnt(0)
	v_pk_add_f16 v26, v14, v19 neg_lo:[0,1] neg_hi:[0,1]
	v_lshrrev_b32_e32 v23, 16, v26
	v_pk_add_f16 v29, v17, v20 neg_lo:[0,1] neg_hi:[0,1]
	v_pk_add_f16 v7, v14, v19
	s_movk_i32 s8, 0x36a6
	v_mul_f16_e32 v30, 0xbb47, v23
	v_lshrrev_b32_e32 v28, 16, v29
	v_fma_f16 v0, v7, s8, -v30
	v_pk_add_f16 v8, v17, v20
	s_mov_b32 s9, 0xb93d
	v_mul_f16_e32 v34, 0xba0c, v28
	v_add_f16_e32 v0, v9, v0
	v_fma_f16 v4, v8, s9, -v34
	v_lshrrev_b32_e32 v25, 16, v7
	v_mul_f16_e32 v40, 0xbb47, v26
	v_add_f16_e32 v0, v0, v4
	v_fma_f16 v4, v25, s8, v40
	v_lshrrev_b32_e32 v27, 16, v8
	v_mul_f16_e32 v42, 0xba0c, v29
	v_add_f16_sdwa v4, v9, v4 dst_sel:DWORD dst_unused:UNUSED_PAD src0_sel:WORD_1 src1_sel:DWORD
	v_fma_f16 v15, v27, s9, v42
	s_mov_b32 s14, 0xb08e
	v_mul_f16_e32 v46, 0xbbeb, v23
	v_add_f16_e32 v4, v4, v15
	v_fma_f16 v15, v7, s14, -v46
	s_mov_b32 s15, 0xbbad
	v_mul_f16_e32 v48, 0x3482, v28
	v_add_f16_e32 v15, v9, v15
	v_fma_f16 v16, v8, s15, -v48
	v_mul_f16_e32 v52, 0xbbeb, v26
	v_add_f16_e32 v15, v15, v16
	v_fma_f16 v16, v25, s14, v52
	v_mul_f16_e32 v53, 0x3482, v29
	v_pk_add_f16 v36, v18, v21 neg_lo:[0,1] neg_hi:[0,1]
	v_add_f16_sdwa v16, v9, v16 dst_sel:DWORD dst_unused:UNUSED_PAD src0_sel:WORD_1 src1_sel:DWORD
	v_fma_f16 v22, v27, s15, v53
	v_lshrrev_b32_e32 v33, 16, v36
	v_add_f16_e32 v16, v16, v22
	v_pk_add_f16 v22, v18, v21
	v_mul_f16_e32 v38, 0x3482, v33
	v_fma_f16 v24, v22, s15, -v38
	v_lshrrev_b32_e32 v32, 16, v22
	v_mul_f16_e32 v47, 0x3482, v36
	v_add_f16_e32 v0, v0, v24
	v_fma_f16 v24, v32, s15, v47
	v_mul_f16_e32 v51, 0x3b47, v33
	v_add_f16_e32 v4, v4, v24
	v_fma_f16 v24, v22, s8, -v51
	v_mul_f16_e32 v56, 0x3b47, v36
	v_pk_add_f16 v39, v12, v13 neg_lo:[0,1] neg_hi:[0,1]
	v_add_f16_e32 v15, v15, v24
	v_fma_f16 v24, v32, s8, v56
	v_lshrrev_b32_e32 v37, 16, v39
	v_add_f16_e32 v16, v16, v24
	v_pk_add_f16 v24, v12, v13
	v_mul_f16_e32 v44, 0x3beb, v37
	v_fma_f16 v31, v24, s14, -v44
	v_lshrrev_b32_e32 v35, 16, v24
	v_mul_f16_e32 v50, 0x3beb, v39
	v_add_f16_e32 v0, v31, v0
	v_fma_f16 v31, v35, s14, v50
	s_movk_i32 s16, 0x3abb
	v_mul_f16_e32 v55, 0xb853, v37
	v_add_f16_e32 v4, v31, v4
	v_fma_f16 v31, v24, s16, -v55
	v_mul_f16_e32 v58, 0xb853, v39
	v_pk_add_f16 v45, v10, v11 neg_lo:[0,1] neg_hi:[0,1]
	v_add_f16_e32 v15, v31, v15
	v_fma_f16 v31, v35, s16, v58
	v_lshrrev_b32_e32 v43, 16, v45
	v_add_f16_e32 v16, v31, v16
	v_pk_add_f16 v31, v10, v11
	v_mul_f16_e32 v49, 0x3853, v43
	v_fma_f16 v41, v31, s16, -v49
	v_add_f16_e32 v0, v41, v0
	v_lshrrev_b32_e32 v41, 16, v31
	v_mul_f16_e32 v54, 0x3853, v45
	v_fma_f16 v57, v41, s16, v54
	v_add_f16_e32 v4, v57, v4
	v_mul_f16_e32 v57, 0xba0c, v43
	v_fma_f16 v59, v31, s9, -v57
	v_add_f16_e32 v15, v59, v15
	v_mul_f16_e32 v59, 0xba0c, v45
	v_fma_f16 v60, v41, s9, v59
	v_add_f16_e32 v16, v60, v16
	s_mov_b32 s22, 0xbb47
	s_mov_b32 s21, 0xbbeb
	;; [unrolled: 1-line block ×3, first 2 shown]
	s_movk_i32 s24, 0x3482
	s_movk_i32 s17, 0x3b47
	;; [unrolled: 1-line block ×3, first 2 shown]
	s_mov_b32 s19, 0xb853
	s_movk_i32 s23, 0x3853
	s_and_saveexec_b64 s[6:7], s[2:3]
	s_cbranch_execz .LBB0_13
; %bb.12:
	v_mul_f16_e32 v60, 0xba0c, v26
	v_fma_f16 v61, v25, s9, v60
	v_mul_f16_e32 v62, 0x3beb, v29
	v_add_f16_sdwa v61, v9, v61 dst_sel:DWORD dst_unused:UNUSED_PAD src0_sel:WORD_1 src1_sel:DWORD
	v_fma_f16 v63, v27, s14, v62
	v_add_f16_e32 v61, v61, v63
	v_mul_f16_e32 v63, 0xb853, v36
	v_fma_f16 v64, v32, s16, v63
	v_add_f16_e32 v61, v61, v64
	v_mul_f16_e32 v64, 0xb482, v39
	;; [unrolled: 3-line block ×3, first 2 shown]
	v_fma_f16 v66, v41, s8, v65
	v_fma_f16 v60, v25, s9, -v60
	v_add_f16_e32 v61, v66, v61
	s_movk_i32 s2, 0x3a0c
	v_mul_f16_e32 v66, 0xb93d, v7
	v_add_f16_sdwa v60, v9, v60 dst_sel:DWORD dst_unused:UNUSED_PAD src0_sel:WORD_1 src1_sel:DWORD
	v_fma_f16 v62, v27, s14, -v62
	v_fma_f16 v67, v23, s2, v66
	v_mul_f16_e32 v68, 0xb08e, v8
	v_add_f16_e32 v60, v60, v62
	v_fma_f16 v62, v32, s16, -v63
	v_add_f16_e32 v67, v9, v67
	v_fma_f16 v69, v28, s21, v68
	v_add_f16_e32 v60, v60, v62
	v_fma_f16 v62, v35, s15, -v64
	v_add_f16_e32 v67, v67, v69
	v_mul_f16_e32 v69, 0x3abb, v22
	v_add_f16_e32 v60, v62, v60
	v_fma_f16 v62, v41, s8, -v65
	v_fma_f16 v70, v33, s23, v69
	v_add_f16_e32 v60, v62, v60
	v_fma_f16 v62, v23, s18, v66
	v_add_f16_e32 v67, v67, v70
	v_mul_f16_e32 v70, 0xbbad, v24
	v_add_f16_e32 v62, v9, v62
	v_fma_f16 v63, v28, s20, v68
	v_fma_f16 v71, v37, s24, v70
	s_mov_b32 s2, 0xb482
	v_add_f16_e32 v62, v62, v63
	v_fma_f16 v63, v33, s19, v69
	v_add_f16_e32 v67, v71, v67
	v_mul_f16_e32 v71, 0x36a6, v31
	v_add_f16_e32 v62, v62, v63
	v_fma_f16 v63, v37, s2, v70
	v_add_f16_e32 v62, v63, v62
	v_fma_f16 v63, v43, s17, v71
	v_add_f16_e32 v62, v63, v62
	v_mul_f16_e32 v63, 0xb08e, v25
	v_sub_f16_e32 v52, v63, v52
	v_mul_f16_e32 v63, 0xbbad, v27
	v_sub_f16_e32 v53, v63, v53
	v_add_f16_sdwa v52, v9, v52 dst_sel:DWORD dst_unused:UNUSED_PAD src0_sel:WORD_1 src1_sel:DWORD
	v_add_f16_e32 v52, v52, v53
	v_mul_f16_e32 v53, 0x36a6, v32
	v_sub_f16_e32 v53, v53, v56
	v_add_f16_e32 v52, v52, v53
	v_mul_f16_e32 v53, 0x3abb, v35
	v_sub_f16_e32 v53, v53, v58
	;; [unrolled: 3-line block ×3, first 2 shown]
	v_add_f16_e32 v52, v53, v52
	v_mul_f16_e32 v53, 0xb08e, v7
	v_add_f16_e32 v46, v46, v53
	v_mul_f16_e32 v53, 0xbbad, v8
	v_add_f16_e32 v48, v48, v53
	v_add_f16_e32 v46, v9, v46
	;; [unrolled: 1-line block ×3, first 2 shown]
	v_mul_f16_e32 v48, 0x36a6, v22
	v_add_f16_e32 v48, v51, v48
	v_add_f16_e32 v46, v46, v48
	v_mul_f16_e32 v48, 0x3abb, v24
	v_add_f16_e32 v48, v55, v48
	v_add_f16_e32 v46, v48, v46
	;; [unrolled: 3-line block ×3, first 2 shown]
	v_mul_f16_e32 v48, 0x36a6, v25
	v_sub_f16_e32 v40, v48, v40
	v_mul_f16_e32 v48, 0xb93d, v27
	v_sub_f16_e32 v42, v48, v42
	v_add_f16_sdwa v40, v9, v40 dst_sel:DWORD dst_unused:UNUSED_PAD src0_sel:WORD_1 src1_sel:DWORD
	v_add_f16_e32 v40, v40, v42
	v_mul_f16_e32 v42, 0xbbad, v32
	v_sub_f16_e32 v42, v42, v47
	v_add_f16_e32 v40, v40, v42
	v_mul_f16_e32 v42, 0xb08e, v35
	v_sub_f16_e32 v42, v42, v50
	;; [unrolled: 3-line block ×3, first 2 shown]
	v_add_f16_e32 v40, v42, v40
	v_mul_f16_e32 v42, 0x36a6, v7
	v_add_f16_e32 v30, v30, v42
	v_mul_f16_e32 v42, 0xb93d, v8
	v_add_f16_e32 v34, v34, v42
	v_add_f16_e32 v30, v9, v30
	v_add_f16_e32 v30, v30, v34
	v_mul_f16_e32 v34, 0xbbad, v22
	v_add_f16_e32 v34, v38, v34
	v_add_f16_e32 v30, v30, v34
	v_mul_f16_e32 v34, 0xb08e, v24
	v_fma_f16 v72, v43, s22, v71
	v_add_f16_e32 v34, v44, v34
	v_add_f16_e32 v67, v72, v67
	v_pk_mul_f16 v72, v26, s2 op_sel_hi:[1,0]
	v_add_f16_e32 v30, v34, v30
	v_mul_f16_e32 v34, 0x3abb, v31
	v_pk_fma_f16 v73, v7, s15, v72 op_sel:[0,0,1] op_sel_hi:[1,0,0]
	v_pk_mul_f16 v74, v29, s23 op_sel_hi:[1,0]
	v_add_f16_e32 v34, v49, v34
	v_mul_f16_e32 v26, 0xb853, v26
	v_pk_add_f16 v73, v9, v73
	v_pk_fma_f16 v75, v8, s16, v74 op_sel:[0,0,1] op_sel_hi:[1,0,0]
	v_add_f16_e32 v30, v34, v30
	v_fma_f16 v34, v25, s16, -v26
	v_mul_f16_e32 v29, 0xbb47, v29
	v_pk_add_f16 v73, v73, v75
	v_pk_mul_f16 v75, v36, s18 op_sel_hi:[1,0]
	v_add_f16_sdwa v34, v9, v34 dst_sel:DWORD dst_unused:UNUSED_PAD src0_sel:WORD_1 src1_sel:DWORD
	v_fma_f16 v38, v27, s8, -v29
	v_mul_f16_e32 v36, 0xbbeb, v36
	v_add_f16_e32 v34, v34, v38
	v_fma_f16 v38, v32, s14, -v36
	v_pk_fma_f16 v76, v22, s9, v75 op_sel:[0,0,1] op_sel_hi:[1,0,0]
	v_add_f16_e32 v34, v34, v38
	v_mul_f16_e32 v38, 0xba0c, v39
	v_fma_f16 v25, v25, s16, v26
	v_pk_add_f16 v73, v73, v76
	v_pk_mul_f16 v76, v39, s17 op_sel_hi:[1,0]
	v_fma_f16 v39, v35, s9, -v38
	v_add_f16_sdwa v25, v9, v25 dst_sel:DWORD dst_unused:UNUSED_PAD src0_sel:WORD_1 src1_sel:DWORD
	v_fma_f16 v26, v27, s8, v29
	v_pk_add_f16 v14, v9, v14
	v_add_f16_e32 v34, v39, v34
	v_mul_f16_e32 v39, 0xb482, v45
	v_add_f16_e32 v25, v25, v26
	v_fma_f16 v26, v32, s14, v36
	v_pk_add_f16 v14, v14, v17
	v_fma_f16 v42, v41, s15, -v39
	v_mul_f16_e32 v23, 0xb853, v23
	v_add_f16_e32 v25, v25, v26
	v_fma_f16 v26, v35, s9, v38
	v_pk_add_f16 v14, v14, v18
	v_add_f16_e32 v34, v42, v34
	v_fma_f16 v42, v7, s16, v23
	v_mul_f16_e32 v28, 0xbb47, v28
	v_add_f16_e32 v25, v26, v25
	v_fma_f16 v26, v41, s15, v39
	v_fma_f16 v23, v7, s16, -v23
	v_pk_add_f16 v12, v14, v12
	v_pk_fma_f16 v7, v7, s15, v72 op_sel:[0,0,1] op_sel_hi:[1,0,0] neg_lo:[0,0,1] neg_hi:[0,0,1]
	v_fma_f16 v44, v8, s8, v28
	v_add_f16_e32 v25, v26, v25
	v_fma_f16 v26, v8, s8, -v28
	v_pk_add_f16 v10, v12, v10
	v_pk_add_f16 v7, v9, v7
	v_pk_fma_f16 v8, v8, s16, v74 op_sel:[0,0,1] op_sel_hi:[1,0,0] neg_lo:[0,0,1] neg_hi:[0,0,1]
	v_pk_fma_f16 v77, v24, s8, v76 op_sel:[0,0,1] op_sel_hi:[1,0,0]
	v_add_f16_e32 v42, v9, v42
	v_mul_f16_e32 v33, 0xbbeb, v33
	v_pk_add_f16 v10, v10, v11
	v_pk_add_f16 v7, v7, v8
	v_pk_fma_f16 v8, v22, s9, v75 op_sel:[0,0,1] op_sel_hi:[1,0,0] neg_lo:[0,0,1] neg_hi:[0,0,1]
	v_pk_add_f16 v73, v77, v73
	v_pk_mul_f16 v77, v45, s21 op_sel_hi:[1,0]
	v_add_f16_e32 v42, v42, v44
	v_fma_f16 v44, v22, s14, v33
	v_mul_f16_e32 v37, 0xba0c, v37
	v_add_f16_e32 v23, v9, v23
	v_pk_add_f16 v10, v10, v13
	v_pk_add_f16 v7, v7, v8
	v_pk_fma_f16 v8, v24, s8, v76 op_sel:[0,0,1] op_sel_hi:[1,0,0] neg_lo:[0,0,1] neg_hi:[0,0,1]
	v_pk_fma_f16 v78, v31, s14, v77 op_sel:[0,0,1] op_sel_hi:[1,0,0]
	v_add_f16_e32 v42, v42, v44
	v_fma_f16 v44, v24, s9, v37
	v_mul_f16_e32 v43, 0xb482, v43
	v_add_f16_e32 v23, v23, v26
	v_fma_f16 v26, v22, s14, -v33
	v_pk_add_f16 v10, v10, v21
	v_pk_add_f16 v7, v8, v7
	v_pk_fma_f16 v8, v31, s14, v77 op_sel:[0,0,1] op_sel_hi:[1,0,0] neg_lo:[0,0,1] neg_hi:[0,0,1]
	v_pk_add_f16 v73, v78, v73
	v_add_f16_e32 v42, v44, v42
	v_fma_f16 v44, v31, s15, v43
	v_add_f16_e32 v23, v23, v26
	v_fma_f16 v26, v24, s9, -v37
	v_pk_add_f16 v10, v20, v10
	v_pk_add_f16 v7, v8, v7
	s_mov_b32 s2, 0xffff
	v_add_f16_e32 v42, v44, v42
	v_add_f16_e32 v23, v26, v23
	v_fma_f16 v26, v31, s15, -v43
	v_pk_add_f16 v10, v19, v10
	v_mad_u32_u24 v11, v3, 44, 0
	v_bfi_b32 v8, s2, v7, v73
	v_bfi_b32 v7, s2, v73, v7
	s_mov_b32 s2, 0x5040100
	v_add_f16_e32 v23, v26, v23
	ds_write_b32 v11, v10
	v_pack_b32_f16 v10, v30, v40
	v_pack_b32_f16 v12, v42, v34
	ds_write2_b32 v11, v7, v8 offset0:5 offset1:6
	v_pack_b32_f16 v7, v67, v61
	v_perm_b32 v8, v16, v15, s2
	ds_write2_b32 v11, v12, v10 offset0:1 offset1:2
	v_pack_b32_f16 v10, v46, v52
	v_pack_b32_f16 v12, v62, v60
	ds_write2_b32 v11, v7, v8 offset0:7 offset1:8
	v_pack_b32_f16 v7, v23, v25
	v_perm_b32 v8, v4, v0, s2
	ds_write2_b32 v11, v10, v12 offset0:3 offset1:4
	ds_write2_b32 v11, v8, v7 offset0:9 offset1:10
.LBB0_13:
	s_or_b64 exec, exec, s[6:7]
	s_load_dwordx2 s[2:3], s[4:5], 0x0
	v_add_u32_e32 v7, 0x1ef, v3
	s_mov_b32 s4, 0xba2f
	v_add_u32_e32 v13, 0xa5, v3
	v_mul_u32_u24_sdwa v10, v7, s4 dst_sel:DWORD dst_unused:UNUSED_PAD src0_sel:WORD_0 src1_sel:DWORD
	v_mul_u32_u24_sdwa v20, v13, s4 dst_sel:DWORD dst_unused:UNUSED_PAD src0_sel:WORD_0 src1_sel:DWORD
	v_lshrrev_b32_e32 v25, 19, v10
	v_add_u32_e32 v18, 0x14a, v3
	v_lshrrev_b32_e32 v23, 19, v20
	v_mul_lo_u16_e32 v10, 11, v25
	v_mul_lo_u16_e32 v8, 11, v23
	v_mul_u32_u24_sdwa v19, v18, s4 dst_sel:DWORD dst_unused:UNUSED_PAD src0_sel:WORD_0 src1_sel:DWORD
	v_sub_u16_e32 v7, v7, v10
	s_movk_i32 s4, 0x75
	v_sub_u16_e32 v8, v13, v8
	v_lshlrev_b32_e32 v28, 2, v7
	v_mul_lo_u16_sdwa v7, v3, s4 dst_sel:DWORD dst_unused:UNUSED_PAD src0_sel:BYTE_0 src1_sel:DWORD
	v_lshlrev_b32_e32 v26, 2, v8
	v_sub_u16_sdwa v8, v3, v7 dst_sel:DWORD dst_unused:UNUSED_PAD src0_sel:DWORD src1_sel:BYTE_1
	v_lshrrev_b16_e32 v8, 1, v8
	v_and_b32_e32 v8, 0x7f, v8
	v_lshrrev_b32_e32 v24, 19, v19
	v_add_u16_sdwa v7, v8, v7 dst_sel:DWORD dst_unused:UNUSED_PAD src0_sel:DWORD src1_sel:BYTE_1
	v_mul_lo_u16_e32 v9, 11, v24
	v_lshrrev_b16_e32 v32, 3, v7
	v_sub_u16_e32 v9, v18, v9
	v_mul_lo_u16_e32 v7, 11, v32
	s_waitcnt lgkmcnt(0)
	s_barrier
	v_lshlrev_b32_e32 v27, 2, v9
	global_load_dword v29, v28, s[12:13]
	global_load_dword v30, v27, s[12:13]
	;; [unrolled: 1-line block ×3, first 2 shown]
	v_sub_u16_e32 v7, v3, v7
	v_mov_b32_e32 v17, 2
	v_lshlrev_b32_sdwa v33, v17, v7 dst_sel:DWORD dst_unused:UNUSED_PAD src0_sel:DWORD src1_sel:BYTE_0
	global_load_dword v34, v33, s[12:13]
	v_lshl_add_u32 v14, v3, 2, 0
	v_add_u32_e32 v9, 0xa00, v14
	v_add_u32_e32 v11, 0x400, v14
	;; [unrolled: 1-line block ×3, first 2 shown]
	ds_read2_b32 v[7:8], v14 offset1:165
	ds_read2_b32 v[9:10], v9 offset0:20 offset1:185
	ds_read2_b32 v[11:12], v11 offset0:74 offset1:239
	;; [unrolled: 1-line block ×3, first 2 shown]
	v_mul_u32_u24_e32 v23, 0x58, v23
	v_mul_u32_u24_e32 v24, 0x58, v24
	v_add3_u32 v26, 0, v23, v26
	v_mul_u32_u24_e32 v23, 0x58, v32
	v_mul_u32_u24_e32 v25, 0x58, v25
	v_add3_u32 v24, 0, v24, v27
	v_add3_u32 v27, 0, v23, v33
	s_mov_b32 s4, 0xffff
	v_add3_u32 v25, 0, v25, v28
	v_add_u32_e32 v35, 0x600, v14
	v_add_u32_e32 v36, 0xd00, v14
	s_waitcnt vmcnt(0) lgkmcnt(0)
	s_barrier
	v_pk_mul_f16 v23, v29, v22 op_sel:[0,1]
	v_pk_mul_f16 v28, v30, v21 op_sel:[0,1]
	v_pk_fma_f16 v33, v29, v22, v23 op_sel:[0,0,1] op_sel_hi:[1,1,0]
	v_pk_fma_f16 v22, v29, v22, v23 op_sel:[0,0,1] op_sel_hi:[1,0,0] neg_lo:[1,0,0] neg_hi:[1,0,0]
	v_pk_fma_f16 v23, v30, v21, v28 op_sel:[0,0,1] op_sel_hi:[1,1,0]
	v_pk_fma_f16 v21, v30, v21, v28 op_sel:[0,0,1] op_sel_hi:[1,0,0] neg_lo:[1,0,0] neg_hi:[1,0,0]
	v_bfi_b32 v22, s4, v33, v22
	v_pk_mul_f16 v32, v31, v10 op_sel:[0,1]
	v_bfi_b32 v21, s4, v23, v21
	v_pk_add_f16 v23, v12, v22 neg_lo:[0,1] neg_hi:[0,1]
	v_pk_fma_f16 v28, v31, v10, v32 op_sel:[0,0,1] op_sel_hi:[1,1,0]
	v_pk_fma_f16 v10, v31, v10, v32 op_sel:[0,0,1] op_sel_hi:[1,0,0] neg_lo:[1,0,0] neg_hi:[1,0,0]
	v_pk_add_f16 v22, v11, v21 neg_lo:[0,1] neg_hi:[0,1]
	v_pk_fma_f16 v21, v12, 2.0, v23 op_sel_hi:[1,0,1] neg_lo:[0,0,1] neg_hi:[0,0,1]
	v_pk_mul_f16 v12, v34, v9 op_sel:[0,1]
	v_bfi_b32 v10, s4, v28, v10
	v_pk_fma_f16 v28, v34, v9, v12 op_sel:[0,0,1] op_sel_hi:[1,1,0]
	v_pk_fma_f16 v9, v34, v9, v12 op_sel:[0,0,1] op_sel_hi:[1,0,0] neg_lo:[1,0,0] neg_hi:[1,0,0]
	v_bfi_b32 v9, s4, v28, v9
	v_pk_add_f16 v10, v8, v10 neg_lo:[0,1] neg_hi:[0,1]
	v_pk_add_f16 v9, v7, v9 neg_lo:[0,1] neg_hi:[0,1]
	v_pk_fma_f16 v11, v11, 2.0, v22 op_sel_hi:[1,0,1] neg_lo:[0,0,1] neg_hi:[0,0,1]
	v_pk_fma_f16 v8, v8, 2.0, v10 op_sel_hi:[1,0,1] neg_lo:[0,0,1] neg_hi:[0,0,1]
	;; [unrolled: 1-line block ×3, first 2 shown]
	ds_write2_b32 v27, v7, v9 offset1:11
	ds_write2_b32 v26, v8, v10 offset1:11
	;; [unrolled: 1-line block ×4, first 2 shown]
	s_waitcnt lgkmcnt(0)
	s_barrier
	ds_read2_b32 v[7:8], v14 offset1:165
	ds_read2_b32 v[11:12], v35 offset0:56 offset1:221
	ds_read2_b32 v[9:10], v36 offset0:48 offset1:213
	s_movk_i32 s4, 0x6e
	v_cmp_gt_u32_e32 vcc, s4, v3
	v_lshrrev_b32_e32 v22, 16, v21
	v_lshrrev_b32_e32 v24, 16, v23
	s_and_saveexec_b64 s[4:5], vcc
	s_cbranch_execz .LBB0_15
; %bb.14:
	ds_read_b32 v21, v14 offset:1320
	ds_read_b32 v23, v14 offset:3080
	;; [unrolled: 1-line block ×3, first 2 shown]
	s_waitcnt lgkmcnt(2)
	v_lshrrev_b32_e32 v22, 16, v21
	s_waitcnt lgkmcnt(1)
	v_lshrrev_b32_e32 v24, 16, v23
	;; [unrolled: 2-line block ×3, first 2 shown]
.LBB0_15:
	s_or_b64 exec, exec, s[4:5]
	v_lshrrev_b16_e32 v25, 1, v3
	v_and_b32_e32 v25, 0x7f, v25
	v_mul_lo_u16_e32 v25, 0xbb, v25
	v_lshrrev_b16_e32 v31, 11, v25
	v_lshrrev_b32_e32 v20, 20, v20
	v_lshrrev_b32_e32 v19, 20, v19
	v_mul_lo_u16_e32 v25, 22, v31
	v_mul_lo_u16_e32 v27, 22, v20
	;; [unrolled: 1-line block ×3, first 2 shown]
	v_sub_u16_e32 v32, v3, v25
	v_mov_b32_e32 v25, 3
	v_sub_u16_e32 v33, v13, v27
	v_sub_u16_e32 v18, v18, v29
	v_lshlrev_b32_sdwa v25, v25, v32 dst_sel:DWORD dst_unused:UNUSED_PAD src0_sel:DWORD src1_sel:BYTE_0
	v_lshlrev_b32_e32 v27, 3, v33
	v_lshlrev_b32_e32 v29, 3, v18
	global_load_dwordx2 v[25:26], v25, s[12:13] offset:44
	s_waitcnt lgkmcnt(1)
	v_lshrrev_b32_e32 v35, 16, v11
	global_load_dwordx2 v[27:28], v27, s[12:13] offset:44
	s_waitcnt lgkmcnt(0)
	v_lshrrev_b32_e32 v36, 16, v9
	global_load_dwordx2 v[29:30], v29, s[12:13] offset:44
	v_lshrrev_b32_e32 v37, 16, v12
	v_lshrrev_b32_e32 v38, 16, v10
	;; [unrolled: 1-line block ×4, first 2 shown]
	s_mov_b32 s4, 0xbaee
	s_movk_i32 s5, 0x3aee
	v_lshlrev_b32_sdwa v17, v17, v32 dst_sel:DWORD dst_unused:UNUSED_PAD src0_sel:DWORD src1_sel:BYTE_0
	s_waitcnt vmcnt(0)
	s_barrier
	v_mul_f16_sdwa v40, v25, v35 dst_sel:DWORD dst_unused:UNUSED_PAD src0_sel:WORD_1 src1_sel:DWORD
	v_mul_f16_sdwa v41, v25, v11 dst_sel:DWORD dst_unused:UNUSED_PAD src0_sel:WORD_1 src1_sel:DWORD
	v_mul_f16_sdwa v42, v26, v36 dst_sel:DWORD dst_unused:UNUSED_PAD src0_sel:WORD_1 src1_sel:DWORD
	v_mul_f16_sdwa v43, v26, v9 dst_sel:DWORD dst_unused:UNUSED_PAD src0_sel:WORD_1 src1_sel:DWORD
	v_mul_f16_sdwa v44, v27, v37 dst_sel:DWORD dst_unused:UNUSED_PAD src0_sel:WORD_1 src1_sel:DWORD
	v_mul_f16_sdwa v45, v27, v12 dst_sel:DWORD dst_unused:UNUSED_PAD src0_sel:WORD_1 src1_sel:DWORD
	v_mul_f16_sdwa v46, v28, v38 dst_sel:DWORD dst_unused:UNUSED_PAD src0_sel:WORD_1 src1_sel:DWORD
	v_mul_f16_sdwa v47, v28, v10 dst_sel:DWORD dst_unused:UNUSED_PAD src0_sel:WORD_1 src1_sel:DWORD
	v_mul_f16_sdwa v48, v24, v29 dst_sel:DWORD dst_unused:UNUSED_PAD src0_sel:DWORD src1_sel:WORD_1
	v_mul_f16_sdwa v49, v23, v29 dst_sel:DWORD dst_unused:UNUSED_PAD src0_sel:DWORD src1_sel:WORD_1
	;; [unrolled: 1-line block ×4, first 2 shown]
	v_fma_f16 v11, v25, v11, v40
	v_fma_f16 v25, v25, v35, -v41
	v_fma_f16 v9, v26, v9, v42
	v_fma_f16 v26, v26, v36, -v43
	;; [unrolled: 2-line block ×6, first 2 shown]
	v_add_f16_e32 v29, v11, v7
	v_add_f16_e32 v30, v11, v9
	v_sub_f16_e32 v35, v25, v26
	v_add_f16_e32 v36, v25, v39
	v_add_f16_e32 v25, v25, v26
	;; [unrolled: 1-line block ×4, first 2 shown]
	v_sub_f16_e32 v40, v27, v28
	v_add_f16_e32 v41, v34, v27
	v_add_f16_e32 v27, v27, v28
	v_sub_f16_e32 v42, v12, v10
	v_add_f16_e32 v12, v21, v23
	v_add_f16_e32 v43, v23, v15
	;; [unrolled: 3-line block ×3, first 2 shown]
	v_sub_f16_e32 v11, v11, v9
	v_sub_f16_e32 v23, v23, v15
	v_add_f16_e32 v29, v29, v9
	v_fma_f16 v7, v30, -0.5, v7
	v_fma_f16 v25, v25, -0.5, v39
	v_add_f16_e32 v30, v37, v10
	v_fma_f16 v8, v38, -0.5, v8
	v_fma_f16 v10, v27, -0.5, v34
	v_add_f16_e32 v9, v12, v15
	v_fma_f16 v15, v43, -0.5, v21
	v_add_f16_e32 v12, v45, v16
	;; [unrolled: 2-line block ×3, first 2 shown]
	v_fma_f16 v21, v35, s4, v7
	v_fma_f16 v22, v35, s5, v7
	;; [unrolled: 1-line block ×12, first 2 shown]
	v_mul_u32_u24_e32 v23, 0x108, v31
	v_add3_u32 v17, 0, v23, v17
	v_pack_b32_f16 v23, v29, v26
	v_pack_b32_f16 v21, v21, v24
	ds_write2_b32 v17, v23, v21 offset1:22
	v_pack_b32_f16 v21, v22, v25
	v_add_f16_e32 v28, v41, v28
	ds_write_b32 v17, v21 offset:176
	v_mul_u32_u24_e32 v17, 0x108, v20
	v_lshlrev_b32_e32 v20, 2, v33
	v_add3_u32 v17, 0, v17, v20
	v_pack_b32_f16 v20, v30, v28
	v_pack_b32_f16 v21, v27, v34
	ds_write2_b32 v17, v20, v21 offset1:22
	v_pack_b32_f16 v20, v7, v8
	ds_write_b32 v17, v20 offset:176
	s_and_saveexec_b64 s[4:5], vcc
	s_cbranch_execz .LBB0_17
; %bb.16:
	v_mul_lo_u16_e32 v17, 0x42, v19
	v_lshlrev_b32_e32 v18, 2, v18
	v_lshlrev_b32_e32 v17, 2, v17
	s_mov_b32 s6, 0x5040100
	v_add3_u32 v17, 0, v18, v17
	v_perm_b32 v18, v12, v9, s6
	v_perm_b32 v19, v15, v10, s6
	ds_write2_b32 v17, v18, v19 offset1:22
	v_perm_b32 v18, v16, v11, s6
	ds_write_b32 v17, v18 offset:176
.LBB0_17:
	s_or_b64 exec, exec, s[4:5]
	s_waitcnt lgkmcnt(0)
	s_barrier
	ds_read_b32 v17, v14
	ds_read_b32 v21, v14 offset:1056
	ds_read_b32 v20, v14 offset:2112
	;; [unrolled: 1-line block ×4, first 2 shown]
	s_movk_i32 s4, 0x63
	v_cmp_gt_u32_e32 vcc, s4, v3
	s_and_saveexec_b64 s[4:5], vcc
	s_cbranch_execz .LBB0_19
; %bb.18:
	ds_read_b32 v7, v14 offset:660
	ds_read_b32 v0, v14 offset:4884
	ds_read_b32 v9, v14 offset:1716
	ds_read_b32 v10, v14 offset:2772
	ds_read_b32 v11, v14 offset:3828
	s_waitcnt lgkmcnt(4)
	v_lshrrev_b32_e32 v8, 16, v7
	s_waitcnt lgkmcnt(3)
	v_lshrrev_b32_e32 v4, 16, v0
	;; [unrolled: 2-line block ×5, first 2 shown]
.LBB0_19:
	s_or_b64 exec, exec, s[4:5]
	s_movk_i32 s4, 0xf9
	v_mul_lo_u16_sdwa v22, v3, s4 dst_sel:DWORD dst_unused:UNUSED_PAD src0_sel:BYTE_0 src1_sel:DWORD
	v_lshrrev_b16_e32 v26, 14, v22
	v_mul_lo_u16_e32 v22, 0x42, v26
	v_sub_u16_e32 v27, v3, v22
	v_mov_b32_e32 v22, 4
	v_lshlrev_b32_sdwa v22, v22, v27 dst_sel:DWORD dst_unused:UNUSED_PAD src0_sel:DWORD src1_sel:BYTE_0
	global_load_dwordx4 v[22:25], v22, s[12:13] offset:220
	s_waitcnt lgkmcnt(3)
	v_lshrrev_b32_e32 v29, 16, v21
	s_waitcnt lgkmcnt(2)
	v_lshrrev_b32_e32 v30, 16, v20
	;; [unrolled: 2-line block ×4, first 2 shown]
	v_mov_b32_e32 v33, 2
	v_lshlrev_b32_sdwa v27, v33, v27 dst_sel:DWORD dst_unused:UNUSED_PAD src0_sel:DWORD src1_sel:BYTE_0
	v_lshrrev_b32_e32 v28, 16, v17
	s_mov_b32 s8, 0xbb9c
	s_movk_i32 s14, 0x3b9c
	s_mov_b32 s7, 0xb8b4
	s_movk_i32 s9, 0x38b4
	s_movk_i32 s6, 0x34f2
	s_waitcnt vmcnt(0)
	s_barrier
	v_mul_f16_sdwa v33, v22, v29 dst_sel:DWORD dst_unused:UNUSED_PAD src0_sel:WORD_1 src1_sel:DWORD
	v_mul_f16_sdwa v34, v22, v21 dst_sel:DWORD dst_unused:UNUSED_PAD src0_sel:WORD_1 src1_sel:DWORD
	v_mul_f16_sdwa v35, v23, v30 dst_sel:DWORD dst_unused:UNUSED_PAD src0_sel:WORD_1 src1_sel:DWORD
	v_mul_f16_sdwa v36, v23, v20 dst_sel:DWORD dst_unused:UNUSED_PAD src0_sel:WORD_1 src1_sel:DWORD
	v_mul_f16_sdwa v37, v24, v31 dst_sel:DWORD dst_unused:UNUSED_PAD src0_sel:WORD_1 src1_sel:DWORD
	v_mul_f16_sdwa v38, v24, v19 dst_sel:DWORD dst_unused:UNUSED_PAD src0_sel:WORD_1 src1_sel:DWORD
	v_mul_f16_sdwa v39, v25, v32 dst_sel:DWORD dst_unused:UNUSED_PAD src0_sel:WORD_1 src1_sel:DWORD
	v_mul_f16_sdwa v40, v25, v18 dst_sel:DWORD dst_unused:UNUSED_PAD src0_sel:WORD_1 src1_sel:DWORD
	v_fma_f16 v21, v22, v21, v33
	v_fma_f16 v22, v22, v29, -v34
	v_fma_f16 v20, v23, v20, v35
	v_fma_f16 v23, v23, v30, -v36
	;; [unrolled: 2-line block ×4, first 2 shown]
	v_add_f16_e32 v29, v17, v21
	v_add_f16_e32 v30, v20, v19
	v_sub_f16_e32 v33, v21, v20
	v_sub_f16_e32 v34, v18, v19
	v_add_f16_e32 v35, v21, v18
	v_add_f16_e32 v38, v28, v22
	;; [unrolled: 1-line block ×4, first 2 shown]
	v_sub_f16_e32 v31, v22, v25
	v_sub_f16_e32 v32, v23, v24
	;; [unrolled: 1-line block ×8, first 2 shown]
	v_add_f16_e32 v20, v29, v20
	v_fma_f16 v29, v30, -0.5, v17
	v_add_f16_e32 v30, v33, v34
	v_fma_f16 v17, v35, -0.5, v17
	;; [unrolled: 2-line block ×3, first 2 shown]
	v_fma_f16 v28, v43, -0.5, v28
	v_sub_f16_e32 v42, v25, v24
	v_sub_f16_e32 v44, v24, v25
	v_add_f16_e32 v33, v36, v37
	v_add_f16_e32 v19, v20, v19
	v_fma_f16 v20, v31, s8, v29
	v_fma_f16 v29, v31, s14, v29
	;; [unrolled: 1-line block ×4, first 2 shown]
	v_add_f16_e32 v23, v23, v24
	v_fma_f16 v24, v21, s14, v34
	v_fma_f16 v37, v40, s8, v28
	;; [unrolled: 1-line block ×3, first 2 shown]
	v_add_f16_e32 v35, v41, v42
	v_add_f16_e32 v22, v22, v44
	v_fma_f16 v34, v21, s8, v34
	v_add_f16_e32 v18, v19, v18
	v_fma_f16 v19, v32, s7, v20
	v_fma_f16 v20, v32, s9, v29
	v_fma_f16 v29, v31, s7, v36
	v_fma_f16 v17, v31, s9, v17
	v_fma_f16 v24, v40, s9, v24
	v_fma_f16 v31, v21, s9, v37
	v_fma_f16 v21, v21, s7, v28
	v_add_f16_e32 v23, v23, v25
	v_fma_f16 v19, v30, s6, v19
	v_fma_f16 v28, v33, s6, v29
	;; [unrolled: 1-line block ×5, first 2 shown]
	v_mul_u32_u24_e32 v22, 0x528, v26
	v_fma_f16 v25, v40, s7, v34
	v_fma_f16 v17, v33, s6, v17
	v_add3_u32 v22, 0, v22, v27
	v_pack_b32_f16 v18, v18, v23
	v_pack_b32_f16 v19, v19, v24
	v_fma_f16 v20, v30, s6, v20
	v_fma_f16 v25, v35, s6, v25
	ds_write2_b32 v22, v18, v19 offset1:66
	v_pack_b32_f16 v18, v28, v29
	v_pack_b32_f16 v17, v17, v21
	ds_write2_b32 v22, v18, v17 offset0:132 offset1:198
	v_pack_b32_f16 v17, v20, v25
	ds_write_b32 v22, v17 offset:1056
	s_and_saveexec_b64 s[4:5], vcc
	s_cbranch_execz .LBB0_21
; %bb.20:
	s_mov_b32 s15, 0xf83f
	v_mul_u32_u24_sdwa v17, v13, s15 dst_sel:DWORD dst_unused:UNUSED_PAD src0_sel:WORD_0 src1_sel:DWORD
	v_lshrrev_b32_e32 v21, 22, v17
	v_mul_lo_u16_e32 v17, 0x42, v21
	v_sub_u16_e32 v22, v13, v17
	v_lshlrev_b32_e32 v17, 4, v22
	global_load_dwordx4 v[17:20], v17, s[12:13] offset:220
	v_mul_lo_u16_e32 v21, 0x14a, v21
	v_lshlrev_b32_e32 v21, 2, v21
	v_lshlrev_b32_e32 v22, 2, v22
	v_add3_u32 v21, 0, v22, v21
	s_waitcnt vmcnt(0)
	v_mul_f16_sdwa v22, v10, v18 dst_sel:DWORD dst_unused:UNUSED_PAD src0_sel:DWORD src1_sel:WORD_1
	v_mul_f16_sdwa v23, v9, v17 dst_sel:DWORD dst_unused:UNUSED_PAD src0_sel:DWORD src1_sel:WORD_1
	v_mul_f16_sdwa v24, v11, v19 dst_sel:DWORD dst_unused:UNUSED_PAD src0_sel:DWORD src1_sel:WORD_1
	v_mul_f16_sdwa v25, v0, v20 dst_sel:DWORD dst_unused:UNUSED_PAD src0_sel:DWORD src1_sel:WORD_1
	v_mul_f16_sdwa v26, v12, v17 dst_sel:DWORD dst_unused:UNUSED_PAD src0_sel:DWORD src1_sel:WORD_1
	v_mul_f16_sdwa v27, v4, v20 dst_sel:DWORD dst_unused:UNUSED_PAD src0_sel:DWORD src1_sel:WORD_1
	v_mul_f16_sdwa v28, v15, v18 dst_sel:DWORD dst_unused:UNUSED_PAD src0_sel:DWORD src1_sel:WORD_1
	v_mul_f16_sdwa v29, v16, v19 dst_sel:DWORD dst_unused:UNUSED_PAD src0_sel:DWORD src1_sel:WORD_1
	v_fma_f16 v15, v15, v18, -v22
	v_fma_f16 v12, v12, v17, -v23
	;; [unrolled: 1-line block ×4, first 2 shown]
	v_fma_f16 v9, v9, v17, v26
	v_fma_f16 v0, v0, v20, v27
	v_fma_f16 v10, v10, v18, v28
	v_fma_f16 v11, v11, v19, v29
	v_sub_f16_e32 v17, v15, v12
	v_sub_f16_e32 v18, v16, v4
	v_add_f16_e32 v20, v12, v4
	v_sub_f16_e32 v23, v10, v9
	v_sub_f16_e32 v24, v11, v0
	v_add_f16_e32 v25, v9, v0
	v_add_f16_e32 v30, v15, v16
	;; [unrolled: 1-line block ×3, first 2 shown]
	v_sub_f16_e32 v19, v9, v0
	v_sub_f16_e32 v26, v15, v16
	;; [unrolled: 1-line block ×6, first 2 shown]
	v_add_f16_e32 v12, v8, v12
	v_add_f16_e32 v9, v7, v9
	;; [unrolled: 1-line block ×3, first 2 shown]
	v_fma_f16 v18, v20, -0.5, v8
	v_add_f16_e32 v20, v23, v24
	v_fma_f16 v23, v25, -0.5, v7
	v_fma_f16 v8, v30, -0.5, v8
	;; [unrolled: 1-line block ×3, first 2 shown]
	v_sub_f16_e32 v22, v10, v11
	v_sub_f16_e32 v32, v0, v11
	v_add_f16_e32 v24, v28, v29
	v_add_f16_e32 v12, v12, v15
	v_add_f16_e32 v9, v9, v10
	v_fma_f16 v15, v26, s14, v23
	v_fma_f16 v28, v19, s14, v8
	;; [unrolled: 1-line block ×3, first 2 shown]
	v_add_f16_e32 v25, v31, v32
	v_fma_f16 v10, v22, s8, v18
	v_add_f16_e32 v12, v12, v16
	v_add_f16_e32 v9, v9, v11
	v_fma_f16 v11, v22, s14, v18
	v_fma_f16 v8, v19, s8, v8
	;; [unrolled: 1-line block ×8, first 2 shown]
	v_add_f16_e32 v4, v12, v4
	v_add_f16_e32 v0, v9, v0
	v_fma_f16 v9, v19, s7, v11
	v_fma_f16 v8, v22, s7, v8
	;; [unrolled: 1-line block ×12, first 2 shown]
	v_pack_b32_f16 v0, v0, v4
	v_pack_b32_f16 v4, v16, v15
	;; [unrolled: 1-line block ×5, first 2 shown]
	ds_write2_b32 v21, v0, v4 offset1:66
	ds_write2_b32 v21, v10, v9 offset0:132 offset1:198
	ds_write_b32 v21, v7 offset:1056
.LBB0_21:
	s_or_b64 exec, exec, s[4:5]
	s_waitcnt lgkmcnt(0)
	s_barrier
	s_and_saveexec_b64 s[4:5], s[0:1]
	s_cbranch_execz .LBB0_23
; %bb.22:
	v_mul_u32_u24_e32 v0, 3, v13
	v_lshlrev_b32_e32 v0, 2, v0
	global_load_dwordx3 v[7:9], v0, s[12:13] offset:1276
	v_mul_u32_u24_e32 v0, 3, v3
	v_lshlrev_b32_e32 v0, 2, v0
	global_load_dwordx3 v[10:12], v0, s[12:13] offset:1276
	v_add_u32_e32 v17, 0xa00, v14
	v_add_u32_e32 v19, 0x400, v14
	ds_read2_b32 v[15:16], v14 offset1:165
	ds_read_u16 v24, v14 offset:4622
	v_add_u32_e32 v14, 0xf00, v14
	ds_read2_b32 v[17:18], v17 offset0:20 offset1:185
	ds_read2_b32 v[19:20], v19 offset0:74 offset1:239
	;; [unrolled: 1-line block ×3, first 2 shown]
	v_mul_lo_u32 v0, s3, v5
	v_mul_lo_u32 v23, s2, v6
	v_mad_u64_u32 v[5:6], s[0:1], s2, v5, 0
	s_waitcnt lgkmcnt(1)
	v_lshrrev_b32_e32 v26, 16, v20
	v_lshrrev_b32_e32 v27, 16, v17
	v_add3_u32 v6, v6, v23, v0
	v_lshrrev_b32_e32 v23, 16, v18
	v_lshrrev_b32_e32 v28, 16, v19
	s_waitcnt lgkmcnt(0)
	v_lshrrev_b32_e32 v29, 16, v21
	v_lshrrev_b32_e32 v0, 16, v16
	;; [unrolled: 1-line block ×3, first 2 shown]
	v_lshlrev_b64 v[5:6], 2, v[5:6]
	v_mov_b32_e32 v25, s11
	v_add_co_u32_e32 v5, vcc, s10, v5
	v_addc_co_u32_e32 v6, vcc, v25, v6, vcc
	v_mov_b32_e32 v4, 0
	s_mov_b32 s0, 0x634c0635
	s_waitcnt vmcnt(1)
	v_lshrrev_b32_e32 v30, 16, v9
	v_mul_f16_sdwa v31, v8, v23 dst_sel:DWORD dst_unused:UNUSED_PAD src0_sel:WORD_1 src1_sel:DWORD
	v_mul_f16_sdwa v32, v7, v20 dst_sel:DWORD dst_unused:UNUSED_PAD src0_sel:WORD_1 src1_sel:DWORD
	;; [unrolled: 1-line block ×4, first 2 shown]
	v_mul_f16_e32 v35, v9, v22
	s_waitcnt vmcnt(0)
	v_mul_f16_sdwa v36, v11, v27 dst_sel:DWORD dst_unused:UNUSED_PAD src0_sel:WORD_1 src1_sel:DWORD
	v_mul_f16_sdwa v37, v10, v19 dst_sel:DWORD dst_unused:UNUSED_PAD src0_sel:WORD_1 src1_sel:DWORD
	;; [unrolled: 1-line block ×6, first 2 shown]
	v_mul_f16_e32 v22, v30, v22
	v_fma_f16 v18, v8, v18, v31
	v_fma_f16 v26, v7, v26, -v32
	v_fma_f16 v8, v8, v23, -v33
	v_fma_f16 v7, v7, v20, v34
	v_fma_f16 v20, v24, v30, v35
	;; [unrolled: 1-line block ×3, first 2 shown]
	v_fma_f16 v23, v10, v28, -v37
	v_fma_f16 v28, v12, v29, -v38
	;; [unrolled: 1-line block ×3, first 2 shown]
	v_fma_f16 v10, v10, v19, v40
	v_fma_f16 v12, v12, v21, v41
	v_fma_f16 v9, v9, v24, -v22
	v_sub_f16_e32 v18, v16, v18
	v_sub_f16_e32 v8, v0, v8
	;; [unrolled: 1-line block ×9, first 2 shown]
	v_fma_f16 v7, v7, 2.0, -v19
	v_fma_f16 v0, v0, 2.0, -v8
	v_add_f16_e32 v19, v17, v20
	v_sub_f16_e32 v22, v11, v12
	v_fma_f16 v10, v10, 2.0, -v12
	v_fma_f16 v12, v14, 2.0, -v11
	;; [unrolled: 1-line block ×3, first 2 shown]
	v_add_f16_e32 v20, v18, v9
	v_fma_f16 v9, v26, 2.0, -v9
	v_sub_f16_e32 v9, v0, v9
	v_fma_f16 v23, v0, 2.0, -v9
	v_lshlrev_b64 v[0:1], 2, v[1:2]
	v_fma_f16 v15, v15, 2.0, -v17
	v_add_co_u32_e32 v2, vcc, v5, v0
	v_addc_co_u32_e32 v5, vcc, v6, v1, vcc
	v_lshlrev_b64 v[0:1], 2, v[3:4]
	v_sub_f16_e32 v10, v15, v10
	v_sub_f16_e32 v14, v12, v14
	v_fma_f16 v15, v15, 2.0, -v10
	v_fma_f16 v12, v12, 2.0, -v14
	v_add_co_u32_e32 v0, vcc, v2, v0
	v_fma_f16 v17, v17, 2.0, -v19
	v_fma_f16 v11, v11, 2.0, -v22
	v_addc_co_u32_e32 v1, vcc, v5, v1, vcc
	v_pack_b32_f16 v2, v15, v12
	v_mul_hi_u32 v3, v13, s0
	global_store_dword v[0:1], v2, off
	v_pack_b32_f16 v2, v17, v11
	global_store_dword v[0:1], v2, off offset:1320
	v_pack_b32_f16 v2, v10, v14
	global_store_dword v[0:1], v2, off offset:2640
	v_pack_b32_f16 v2, v19, v22
	global_store_dword v[0:1], v2, off offset:3960
	v_lshrrev_b32_e32 v2, 7, v3
	v_mul_u32_u24_e32 v3, 0x3de, v2
	v_fma_f16 v16, v16, 2.0, -v18
	v_lshlrev_b64 v[2:3], 2, v[3:4]
	v_sub_f16_e32 v7, v16, v7
	v_fma_f16 v16, v16, 2.0, -v7
	v_add_co_u32_e32 v0, vcc, v0, v2
	v_fma_f16 v8, v8, 2.0, -v21
	v_fma_f16 v18, v18, 2.0, -v20
	v_addc_co_u32_e32 v1, vcc, v1, v3, vcc
	v_pack_b32_f16 v4, v16, v23
	global_store_dword v[0:1], v4, off offset:660
	v_pack_b32_f16 v4, v18, v8
	v_add_co_u32_e32 v2, vcc, 0x294, v0
	global_store_dword v[0:1], v4, off offset:1980
	v_pack_b32_f16 v4, v7, v9
	v_addc_co_u32_e32 v3, vcc, 0, v1, vcc
	global_store_dword v[0:1], v4, off offset:3300
	v_pack_b32_f16 v0, v20, v21
	global_store_dword v[2:3], v0, off offset:3960
.LBB0_23:
	s_endpgm
	.section	.rodata,"a",@progbits
	.p2align	6, 0x0
	.amdhsa_kernel fft_rtc_back_len1320_factors_11_2_3_5_4_wgs_165_tpt_165_half_op_CI_CI_unitstride_sbrr_dirReg
		.amdhsa_group_segment_fixed_size 0
		.amdhsa_private_segment_fixed_size 0
		.amdhsa_kernarg_size 104
		.amdhsa_user_sgpr_count 6
		.amdhsa_user_sgpr_private_segment_buffer 1
		.amdhsa_user_sgpr_dispatch_ptr 0
		.amdhsa_user_sgpr_queue_ptr 0
		.amdhsa_user_sgpr_kernarg_segment_ptr 1
		.amdhsa_user_sgpr_dispatch_id 0
		.amdhsa_user_sgpr_flat_scratch_init 0
		.amdhsa_user_sgpr_private_segment_size 0
		.amdhsa_uses_dynamic_stack 0
		.amdhsa_system_sgpr_private_segment_wavefront_offset 0
		.amdhsa_system_sgpr_workgroup_id_x 1
		.amdhsa_system_sgpr_workgroup_id_y 0
		.amdhsa_system_sgpr_workgroup_id_z 0
		.amdhsa_system_sgpr_workgroup_info 0
		.amdhsa_system_vgpr_workitem_id 0
		.amdhsa_next_free_vgpr 79
		.amdhsa_next_free_sgpr 28
		.amdhsa_reserve_vcc 1
		.amdhsa_reserve_flat_scratch 0
		.amdhsa_float_round_mode_32 0
		.amdhsa_float_round_mode_16_64 0
		.amdhsa_float_denorm_mode_32 3
		.amdhsa_float_denorm_mode_16_64 3
		.amdhsa_dx10_clamp 1
		.amdhsa_ieee_mode 1
		.amdhsa_fp16_overflow 0
		.amdhsa_exception_fp_ieee_invalid_op 0
		.amdhsa_exception_fp_denorm_src 0
		.amdhsa_exception_fp_ieee_div_zero 0
		.amdhsa_exception_fp_ieee_overflow 0
		.amdhsa_exception_fp_ieee_underflow 0
		.amdhsa_exception_fp_ieee_inexact 0
		.amdhsa_exception_int_div_zero 0
	.end_amdhsa_kernel
	.text
.Lfunc_end0:
	.size	fft_rtc_back_len1320_factors_11_2_3_5_4_wgs_165_tpt_165_half_op_CI_CI_unitstride_sbrr_dirReg, .Lfunc_end0-fft_rtc_back_len1320_factors_11_2_3_5_4_wgs_165_tpt_165_half_op_CI_CI_unitstride_sbrr_dirReg
                                        ; -- End function
	.section	.AMDGPU.csdata,"",@progbits
; Kernel info:
; codeLenInByte = 7184
; NumSgprs: 32
; NumVgprs: 79
; ScratchSize: 0
; MemoryBound: 0
; FloatMode: 240
; IeeeMode: 1
; LDSByteSize: 0 bytes/workgroup (compile time only)
; SGPRBlocks: 3
; VGPRBlocks: 19
; NumSGPRsForWavesPerEU: 32
; NumVGPRsForWavesPerEU: 79
; Occupancy: 3
; WaveLimiterHint : 1
; COMPUTE_PGM_RSRC2:SCRATCH_EN: 0
; COMPUTE_PGM_RSRC2:USER_SGPR: 6
; COMPUTE_PGM_RSRC2:TRAP_HANDLER: 0
; COMPUTE_PGM_RSRC2:TGID_X_EN: 1
; COMPUTE_PGM_RSRC2:TGID_Y_EN: 0
; COMPUTE_PGM_RSRC2:TGID_Z_EN: 0
; COMPUTE_PGM_RSRC2:TIDIG_COMP_CNT: 0
	.type	__hip_cuid_b6393f8bbf1f0d83,@object ; @__hip_cuid_b6393f8bbf1f0d83
	.section	.bss,"aw",@nobits
	.globl	__hip_cuid_b6393f8bbf1f0d83
__hip_cuid_b6393f8bbf1f0d83:
	.byte	0                               ; 0x0
	.size	__hip_cuid_b6393f8bbf1f0d83, 1

	.ident	"AMD clang version 19.0.0git (https://github.com/RadeonOpenCompute/llvm-project roc-6.4.0 25133 c7fe45cf4b819c5991fe208aaa96edf142730f1d)"
	.section	".note.GNU-stack","",@progbits
	.addrsig
	.addrsig_sym __hip_cuid_b6393f8bbf1f0d83
	.amdgpu_metadata
---
amdhsa.kernels:
  - .args:
      - .actual_access:  read_only
        .address_space:  global
        .offset:         0
        .size:           8
        .value_kind:     global_buffer
      - .offset:         8
        .size:           8
        .value_kind:     by_value
      - .actual_access:  read_only
        .address_space:  global
        .offset:         16
        .size:           8
        .value_kind:     global_buffer
      - .actual_access:  read_only
        .address_space:  global
        .offset:         24
        .size:           8
        .value_kind:     global_buffer
      - .actual_access:  read_only
        .address_space:  global
        .offset:         32
        .size:           8
        .value_kind:     global_buffer
      - .offset:         40
        .size:           8
        .value_kind:     by_value
      - .actual_access:  read_only
        .address_space:  global
        .offset:         48
        .size:           8
        .value_kind:     global_buffer
      - .actual_access:  read_only
        .address_space:  global
        .offset:         56
        .size:           8
        .value_kind:     global_buffer
      - .offset:         64
        .size:           4
        .value_kind:     by_value
      - .actual_access:  read_only
        .address_space:  global
        .offset:         72
        .size:           8
        .value_kind:     global_buffer
      - .actual_access:  read_only
        .address_space:  global
        .offset:         80
        .size:           8
        .value_kind:     global_buffer
      - .actual_access:  read_only
        .address_space:  global
        .offset:         88
        .size:           8
        .value_kind:     global_buffer
      - .actual_access:  write_only
        .address_space:  global
        .offset:         96
        .size:           8
        .value_kind:     global_buffer
    .group_segment_fixed_size: 0
    .kernarg_segment_align: 8
    .kernarg_segment_size: 104
    .language:       OpenCL C
    .language_version:
      - 2
      - 0
    .max_flat_workgroup_size: 165
    .name:           fft_rtc_back_len1320_factors_11_2_3_5_4_wgs_165_tpt_165_half_op_CI_CI_unitstride_sbrr_dirReg
    .private_segment_fixed_size: 0
    .sgpr_count:     32
    .sgpr_spill_count: 0
    .symbol:         fft_rtc_back_len1320_factors_11_2_3_5_4_wgs_165_tpt_165_half_op_CI_CI_unitstride_sbrr_dirReg.kd
    .uniform_work_group_size: 1
    .uses_dynamic_stack: false
    .vgpr_count:     79
    .vgpr_spill_count: 0
    .wavefront_size: 64
amdhsa.target:   amdgcn-amd-amdhsa--gfx906
amdhsa.version:
  - 1
  - 2
...

	.end_amdgpu_metadata
